;; amdgpu-corpus repo=zjin-lcf/HeCBench kind=compiled arch=gfx1250 opt=O3
	.amdgcn_target "amdgcn-amd-amdhsa--gfx1250"
	.amdhsa_code_object_version 6
	.text
	.protected	_Z18kernel_512_one_128PKfS0_S0_S0_Pf ; -- Begin function _Z18kernel_512_one_128PKfS0_S0_S0_Pf
	.globl	_Z18kernel_512_one_128PKfS0_S0_S0_Pf
	.p2align	8
	.type	_Z18kernel_512_one_128PKfS0_S0_S0_Pf,@function
_Z18kernel_512_one_128PKfS0_S0_S0_Pf:   ; @_Z18kernel_512_one_128PKfS0_S0_S0_Pf
; %bb.0:
	s_load_b256 s[4:11], s[0:1], 0x0
	s_bfe_u32 s2, ttmp6, 0x4000c
	v_and_b32_e32 v1, 0x3ff, v0
	v_bfe_u32 v2, v0, 10, 10
	s_add_co_i32 s2, s2, 1
	s_and_b32 s3, ttmp6, 15
	s_mul_i32 s2, ttmp9, s2
	s_getreg_b32 s12, hwreg(HW_REG_IB_STS2, 6, 4)
	s_add_co_i32 s3, s3, s2
	v_lshl_add_u32 v0, v2, 7, v1
	s_cmp_eq_u32 s12, 0
	s_wait_xcnt 0x0
	s_load_b64 s[0:1], s[0:1], 0x20
	s_cselect_b32 s12, ttmp9, s3
	v_dual_mov_b32 v9, 0 :: v_dual_lshlrev_b32 v8, 2, v0
	v_lshl_add_u32 v3, s12, 11, v0
	v_lshl_add_u32 v5, v2, 11, 0
	s_mov_b32 s3, 0
	s_wait_kmcnt 0x0
	s_clause 0x3
	global_load_b32 v7, v3, s[4:5] scale_offset
	global_load_b32 v10, v3, s[4:5] offset:2048 scale_offset
	global_load_b32 v11, v3, s[4:5] offset:4096 scale_offset
	;; [unrolled: 1-line block ×3, first 2 shown]
	s_clause 0x1
	global_load_b32 v13, v1, s[8:9] scale_offset
	global_load_b32 v14, v1, s[10:11] scale_offset
	s_wait_xcnt 0x0
	v_lshl_add_u32 v1, v1, 2, 0
	v_add_nc_u64_e32 v[2:3], s[6:7], v[8:9]
	v_add_nc_u32_e32 v4, 0, v8
	s_mov_b32 s4, 0
	s_wait_loadcnt 0x4
	ds_store_2addr_stride64_b32 v4, v7, v10 offset1:8
	s_wait_loadcnt 0x2
	ds_store_2addr_stride64_b32 v4, v11, v12 offset0:16 offset1:24
	s_wait_loadcnt 0x0
	ds_store_2addr_stride64_b32 v1, v13, v14 offset0:168 offset1:170
	ds_store_b32 v4, v9 offset:40960
	v_add_nc_u32_e32 v6, 0x2000, v1
	s_wait_dscnt 0x0
	s_barrier_signal -1
	s_barrier_wait -1
.LBB0_1:                                ; =>This Loop Header: Depth=1
                                        ;     Child Loop BB0_2 Depth 2
	s_lshl_b32 s2, s4, 7
	s_delay_alu instid0(SALU_CYCLE_1)
	v_lshl_add_u64 v[8:9], s[2:3], 2, v[2:3]
	s_mov_b32 s2, 0
	s_clause 0xf
	global_load_b32 v7, v[8:9], off
	global_load_b32 v10, v[8:9], off offset:2048
	global_load_b32 v11, v[8:9], off offset:4096
	;; [unrolled: 1-line block ×15, first 2 shown]
	s_wait_loadcnt 0xe
	ds_store_2addr_stride64_b32 v4, v7, v10 offset0:32 offset1:40
	s_wait_loadcnt 0xc
	ds_store_2addr_stride64_b32 v4, v11, v12 offset0:48 offset1:56
	s_wait_loadcnt 0xa
	ds_store_2addr_stride64_b32 v4, v13, v14 offset0:64 offset1:72
	s_wait_loadcnt 0x8
	ds_store_2addr_stride64_b32 v4, v15, v16 offset0:80 offset1:88
	s_wait_loadcnt 0x6
	ds_store_2addr_stride64_b32 v4, v17, v18 offset0:96 offset1:104
	s_wait_loadcnt 0x4
	ds_store_2addr_stride64_b32 v4, v19, v20 offset0:112 offset1:120
	s_wait_loadcnt 0x2
	ds_store_2addr_stride64_b32 v4, v21, v22 offset0:128 offset1:136
	s_wait_loadcnt 0x0
	ds_store_2addr_stride64_b32 v4, v23, v8 offset0:144 offset1:152
	s_wait_dscnt 0x0
	s_barrier_signal -1
	s_barrier_wait -1
	ds_load_b32 v7, v4 offset:40960
	v_mov_b32_e32 v8, v6
.LBB0_2:                                ;   Parent Loop BB0_1 Depth=1
                                        ; =>  This Inner Loop Header: Depth=2
	v_add_nc_u32_e32 v9, s2, v5
	s_add_co_i32 s2, s2, 64
	ds_load_b32 v10, v8
	ds_load_b32 v11, v9
	s_cmp_eq_u32 s2, 0x100
	s_wait_dscnt 0x0
	v_fmac_f32_e32 v7, v11, v10
	ds_store_b32 v4, v7 offset:40960
	ds_load_b32 v10, v9 offset:4
	ds_load_b32 v11, v8 offset:512
	s_wait_dscnt 0x0
	v_fmac_f32_e32 v7, v10, v11
	ds_store_b32 v4, v7 offset:40960
	ds_load_b32 v10, v9 offset:8
	ds_load_b32 v11, v8 offset:1024
	;; [unrolled: 5-line block ×15, first 2 shown]
	s_wait_dscnt 0x0
	v_dual_fmac_f32 v7, v9, v10 :: v_dual_add_nc_u32 v8, 0x2000, v8
	ds_store_b32 v4, v7 offset:40960
	s_cbranch_scc0 .LBB0_2
; %bb.3:                                ;   in Loop: Header=BB0_1 Depth=1
	v_add_nc_u32_e32 v5, 0x100, v5
	s_add_co_i32 s2, s4, 64
	s_cmp_gt_u32 s4, 0x1bf
	s_mov_b32 s4, s2
	s_wait_dscnt 0x0
	s_barrier_signal -1
	s_barrier_wait -1
	s_cbranch_scc0 .LBB0_1
; %bb.4:
	ds_load_2addr_stride64_b32 v[2:3], v1 offset0:168 offset1:170
	ds_load_b32 v1, v4 offset:40960
	s_lshl_b32 s2, s12, 9
	s_delay_alu instid0(SALU_CYCLE_1) | instskip(NEXT) | instid1(SALU_CYCLE_1)
	s_ashr_i32 s3, s2, 31
	s_lshl_b64 s[2:3], s[2:3], 2
	s_delay_alu instid0(SALU_CYCLE_1) | instskip(SKIP_2) | instid1(VALU_DEP_1)
	s_add_nc_u64 s[0:1], s[0:1], s[2:3]
	s_wait_dscnt 0x0
	v_fmac_f32_e32 v2, v3, v1
	v_max_num_f32_e32 v1, 0, v2
	global_store_b32 v0, v1, s[0:1] scale_offset
	s_endpgm
	.section	.rodata,"a",@progbits
	.p2align	6, 0x0
	.amdhsa_kernel _Z18kernel_512_one_128PKfS0_S0_S0_Pf
		.amdhsa_group_segment_fixed_size 0
		.amdhsa_private_segment_fixed_size 0
		.amdhsa_kernarg_size 40
		.amdhsa_user_sgpr_count 2
		.amdhsa_user_sgpr_dispatch_ptr 0
		.amdhsa_user_sgpr_queue_ptr 0
		.amdhsa_user_sgpr_kernarg_segment_ptr 1
		.amdhsa_user_sgpr_dispatch_id 0
		.amdhsa_user_sgpr_kernarg_preload_length 0
		.amdhsa_user_sgpr_kernarg_preload_offset 0
		.amdhsa_user_sgpr_private_segment_size 0
		.amdhsa_wavefront_size32 1
		.amdhsa_uses_dynamic_stack 0
		.amdhsa_enable_private_segment 0
		.amdhsa_system_sgpr_workgroup_id_x 1
		.amdhsa_system_sgpr_workgroup_id_y 0
		.amdhsa_system_sgpr_workgroup_id_z 0
		.amdhsa_system_sgpr_workgroup_info 0
		.amdhsa_system_vgpr_workitem_id 1
		.amdhsa_next_free_vgpr 24
		.amdhsa_next_free_sgpr 13
		.amdhsa_named_barrier_count 0
		.amdhsa_reserve_vcc 0
		.amdhsa_float_round_mode_32 0
		.amdhsa_float_round_mode_16_64 0
		.amdhsa_float_denorm_mode_32 3
		.amdhsa_float_denorm_mode_16_64 3
		.amdhsa_fp16_overflow 0
		.amdhsa_memory_ordered 1
		.amdhsa_forward_progress 1
		.amdhsa_inst_pref_size 10
		.amdhsa_round_robin_scheduling 0
		.amdhsa_exception_fp_ieee_invalid_op 0
		.amdhsa_exception_fp_denorm_src 0
		.amdhsa_exception_fp_ieee_div_zero 0
		.amdhsa_exception_fp_ieee_overflow 0
		.amdhsa_exception_fp_ieee_underflow 0
		.amdhsa_exception_fp_ieee_inexact 0
		.amdhsa_exception_int_div_zero 0
	.end_amdhsa_kernel
	.text
.Lfunc_end0:
	.size	_Z18kernel_512_one_128PKfS0_S0_S0_Pf, .Lfunc_end0-_Z18kernel_512_one_128PKfS0_S0_S0_Pf
                                        ; -- End function
	.set _Z18kernel_512_one_128PKfS0_S0_S0_Pf.num_vgpr, 24
	.set _Z18kernel_512_one_128PKfS0_S0_S0_Pf.num_agpr, 0
	.set _Z18kernel_512_one_128PKfS0_S0_S0_Pf.numbered_sgpr, 13
	.set _Z18kernel_512_one_128PKfS0_S0_S0_Pf.num_named_barrier, 0
	.set _Z18kernel_512_one_128PKfS0_S0_S0_Pf.private_seg_size, 0
	.set _Z18kernel_512_one_128PKfS0_S0_S0_Pf.uses_vcc, 0
	.set _Z18kernel_512_one_128PKfS0_S0_S0_Pf.uses_flat_scratch, 0
	.set _Z18kernel_512_one_128PKfS0_S0_S0_Pf.has_dyn_sized_stack, 0
	.set _Z18kernel_512_one_128PKfS0_S0_S0_Pf.has_recursion, 0
	.set _Z18kernel_512_one_128PKfS0_S0_S0_Pf.has_indirect_call, 0
	.section	.AMDGPU.csdata,"",@progbits
; Kernel info:
; codeLenInByte = 1264
; TotalNumSgprs: 13
; NumVgprs: 24
; ScratchSize: 0
; MemoryBound: 1
; FloatMode: 240
; IeeeMode: 1
; LDSByteSize: 0 bytes/workgroup (compile time only)
; SGPRBlocks: 0
; VGPRBlocks: 1
; NumSGPRsForWavesPerEU: 13
; NumVGPRsForWavesPerEU: 24
; NamedBarCnt: 0
; Occupancy: 16
; WaveLimiterHint : 1
; COMPUTE_PGM_RSRC2:SCRATCH_EN: 0
; COMPUTE_PGM_RSRC2:USER_SGPR: 2
; COMPUTE_PGM_RSRC2:TRAP_HANDLER: 0
; COMPUTE_PGM_RSRC2:TGID_X_EN: 1
; COMPUTE_PGM_RSRC2:TGID_Y_EN: 0
; COMPUTE_PGM_RSRC2:TGID_Z_EN: 0
; COMPUTE_PGM_RSRC2:TIDIG_COMP_CNT: 1
	.text
	.protected	_Z18kernel_128_one_512PKfS0_S0_S0_Pf ; -- Begin function _Z18kernel_128_one_512PKfS0_S0_S0_Pf
	.globl	_Z18kernel_128_one_512PKfS0_S0_S0_Pf
	.p2align	8
	.type	_Z18kernel_128_one_512PKfS0_S0_S0_Pf,@function
_Z18kernel_128_one_512PKfS0_S0_S0_Pf:   ; @_Z18kernel_128_one_512PKfS0_S0_S0_Pf
; %bb.0:
	s_load_b256 s[4:11], s[0:1], 0x0
	s_bfe_u32 s2, ttmp6, 0x4000c
	s_bfe_u32 s12, ttmp6, 0x40010
	s_add_co_i32 s2, s2, 1
	s_and_b32 s3, ttmp6, 15
	s_mul_i32 s2, ttmp9, s2
	s_add_co_i32 s12, s12, 1
	v_and_b32_e32 v1, 0x3ff, v0
	v_bfe_u32 v0, v0, 10, 10
	s_add_co_i32 s3, s3, s2
	s_mul_i32 s2, ttmp7, s12
	s_bfe_u32 s12, ttmp6, 0x40004
	s_getreg_b32 s13, hwreg(HW_REG_IB_STS2, 6, 4)
	s_add_co_i32 s12, s12, s2
	s_cmp_eq_u32 s13, 0
	v_lshl_add_u32 v2, v0, 7, v1
	s_cselect_b32 s2, ttmp7, s12
	s_cselect_b32 s3, ttmp9, s3
	s_lshl_b32 s2, s2, 7
	s_delay_alu instid0(SALU_CYCLE_1)
	v_dual_lshlrev_b32 v0, 9, v0 :: v_dual_add_nc_u32 v4, s2, v1
	v_lshl_add_u32 v3, s3, 9, v2
	s_wait_kmcnt 0x0
	global_load_b32 v6, v3, s[4:5] scale_offset
	s_clause 0x1
	global_load_b32 v7, v4, s[8:9] scale_offset
	global_load_b32 v8, v4, s[10:11] scale_offset
	s_wait_xcnt 0x0
	v_dual_mov_b32 v4, 0 :: v_dual_add_nc_u32 v5, v4, v0
	v_lshl_add_u32 v2, v2, 2, 0
	v_lshl_add_u32 v3, v1, 2, 0
	s_load_b64 s[0:1], s[0:1], 0x20
	s_delay_alu instid0(VALU_DEP_3)
	v_add_nc_u32_e32 v9, 0x800, v5
	v_add_nc_u32_e32 v10, 0x1000, v5
	;; [unrolled: 1-line block ×15, first 2 shown]
	s_mov_b32 s4, 0
	s_wait_loadcnt 0x2
	ds_store_b32 v2, v6
	s_wait_loadcnt 0x0
	ds_store_2addr_stride64_b32 v3, v7, v8 offset0:144 offset1:146
	ds_store_b32 v2, v4 offset:34816
	s_wait_dscnt 0x0
	s_barrier_signal -1
	s_barrier_wait -1
	s_clause 0xf
	global_load_b32 v4, v5, s[6:7] scale_offset
	global_load_b32 v6, v9, s[6:7] scale_offset
	;; [unrolled: 1-line block ×15, first 2 shown]
	; meta instruction
	; meta instruction
	;; [unrolled: 1-line block ×14, first 2 shown]
	global_load_b32 v9, v23, s[6:7] scale_offset
	s_wait_loadcnt 0xe
	ds_store_2addr_stride64_b32 v2, v4, v6 offset0:8 offset1:16
	s_wait_loadcnt 0xc
	ds_store_2addr_stride64_b32 v2, v7, v8 offset0:24 offset1:32
	;; [unrolled: 2-line block ×8, first 2 shown]
	s_wait_dscnt 0x0
	s_barrier_signal -1
	s_barrier_wait -1
	ds_load_b32 v6, v2 offset:34816
	v_add_nc_u32_e32 v4, 0x800, v3
	s_delay_alu instid0(VALU_DEP_1)
	v_dual_mov_b32 v8, v4 :: v_dual_add_nc_u32 v7, 0, v0
.LBB1_1:                                ; =>This Inner Loop Header: Depth=1
	s_delay_alu instid0(VALU_DEP_1)
	v_add_nc_u32_e32 v9, s4, v7
	s_add_co_i32 s4, s4, 64
	ds_load_b32 v10, v8
	ds_load_b32 v11, v9
	s_cmp_eq_u32 s4, 0x100
	s_wait_dscnt 0x0
	v_fmac_f32_e32 v6, v11, v10
	ds_store_b32 v2, v6 offset:34816
	ds_load_b32 v10, v9 offset:4
	ds_load_b32 v11, v8 offset:512
	s_wait_dscnt 0x0
	v_fmac_f32_e32 v6, v10, v11
	ds_store_b32 v2, v6 offset:34816
	ds_load_b32 v10, v9 offset:8
	ds_load_b32 v11, v8 offset:1024
	;; [unrolled: 5-line block ×15, first 2 shown]
	v_add_nc_u32_e32 v8, 0x2000, v8
	s_wait_dscnt 0x0
	v_fmac_f32_e32 v6, v9, v10
	ds_store_b32 v2, v6 offset:34816
	s_cbranch_scc0 .LBB1_1
; %bb.2:
	v_add_nc_u32_e32 v6, 0x8000, v5
	v_add_nc_u32_e32 v7, 0x8800, v5
	;; [unrolled: 1-line block ×5, first 2 shown]
	s_wait_dscnt 0x0
	s_barrier_signal -1
	s_barrier_wait -1
	v_add_nc_u32_e32 v11, 0xa800, v5
	v_add_nc_u32_e32 v12, 0xb000, v5
	;; [unrolled: 1-line block ×3, first 2 shown]
	s_clause 0x7
	global_load_b32 v14, v6, s[6:7] scale_offset
	global_load_b32 v15, v7, s[6:7] scale_offset
	global_load_b32 v16, v8, s[6:7] scale_offset
	global_load_b32 v17, v9, s[6:7] scale_offset
	global_load_b32 v18, v10, s[6:7] scale_offset
	global_load_b32 v19, v11, s[6:7] scale_offset
	global_load_b32 v20, v12, s[6:7] scale_offset
	global_load_b32 v21, v13, s[6:7] scale_offset
	s_wait_xcnt 0x7
	v_add_nc_u32_e32 v6, 0xc000, v5
	s_wait_xcnt 0x6
	v_add_nc_u32_e32 v7, 0xc800, v5
	;; [unrolled: 2-line block ×7, first 2 shown]
	v_add_nc_u32_e32 v5, 0xf800, v5
	s_clause 0x7
	global_load_b32 v13, v6, s[6:7] scale_offset
	global_load_b32 v22, v7, s[6:7] scale_offset
	;; [unrolled: 1-line block ×8, first 2 shown]
	s_wait_xcnt 0x7
	v_add3_u32 v6, v0, 0, 0x100
	s_mov_b32 s4, 0
	s_wait_loadcnt 0xe
	ds_store_2addr_stride64_b32 v2, v14, v15 offset0:8 offset1:16
	s_wait_loadcnt 0xc
	ds_store_2addr_stride64_b32 v2, v16, v17 offset0:24 offset1:32
	;; [unrolled: 2-line block ×8, first 2 shown]
	s_wait_dscnt 0x0
	s_barrier_signal -1
	s_barrier_wait -1
	ds_load_b32 v5, v2 offset:34816
.LBB1_3:                                ; =>This Inner Loop Header: Depth=1
	v_add_nc_u32_e32 v7, s4, v6
	s_add_co_i32 s4, s4, 64
	ds_load_b32 v8, v4
	ds_load_b32 v9, v7
	s_cmp_lg_u32 s4, 0x100
	s_wait_dscnt 0x0
	v_fmac_f32_e32 v5, v9, v8
	ds_store_b32 v2, v5 offset:34816
	ds_load_b32 v8, v7 offset:4
	ds_load_b32 v9, v4 offset:512
	s_wait_dscnt 0x0
	v_fmac_f32_e32 v5, v8, v9
	ds_store_b32 v2, v5 offset:34816
	ds_load_b32 v8, v7 offset:8
	ds_load_b32 v9, v4 offset:1024
	;; [unrolled: 5-line block ×15, first 2 shown]
	v_add_nc_u32_e32 v4, 0x2000, v4
	s_wait_dscnt 0x0
	v_fmac_f32_e32 v5, v7, v8
	ds_store_b32 v2, v5 offset:34816
	s_cbranch_scc1 .LBB1_3
; %bb.4:
	s_wait_dscnt 0x0
	s_barrier_signal -1
	s_barrier_wait -1
	ds_load_2addr_stride64_b32 v[4:5], v3 offset0:144 offset1:146
	ds_load_b32 v2, v2 offset:34816
	s_lshl_b32 s4, s3, 11
	s_ashr_i32 s3, s2, 31
	s_ashr_i32 s5, s4, 31
	s_lshl_b64 s[2:3], s[2:3], 2
	s_lshl_b64 s[4:5], s[4:5], 2
	v_add_nc_u32_e32 v0, v0, v1
	s_wait_kmcnt 0x0
	s_add_nc_u64 s[0:1], s[0:1], s[4:5]
	s_delay_alu instid0(SALU_CYCLE_1)
	s_add_nc_u64 s[0:1], s[0:1], s[2:3]
	s_wait_dscnt 0x0
	v_fmac_f32_e32 v4, v5, v2
	global_store_b32 v0, v4, s[0:1] scale_offset
	s_endpgm
	.section	.rodata,"a",@progbits
	.p2align	6, 0x0
	.amdhsa_kernel _Z18kernel_128_one_512PKfS0_S0_S0_Pf
		.amdhsa_group_segment_fixed_size 0
		.amdhsa_private_segment_fixed_size 0
		.amdhsa_kernarg_size 40
		.amdhsa_user_sgpr_count 2
		.amdhsa_user_sgpr_dispatch_ptr 0
		.amdhsa_user_sgpr_queue_ptr 0
		.amdhsa_user_sgpr_kernarg_segment_ptr 1
		.amdhsa_user_sgpr_dispatch_id 0
		.amdhsa_user_sgpr_kernarg_preload_length 0
		.amdhsa_user_sgpr_kernarg_preload_offset 0
		.amdhsa_user_sgpr_private_segment_size 0
		.amdhsa_wavefront_size32 1
		.amdhsa_uses_dynamic_stack 0
		.amdhsa_enable_private_segment 0
		.amdhsa_system_sgpr_workgroup_id_x 1
		.amdhsa_system_sgpr_workgroup_id_y 1
		.amdhsa_system_sgpr_workgroup_id_z 0
		.amdhsa_system_sgpr_workgroup_info 0
		.amdhsa_system_vgpr_workitem_id 1
		.amdhsa_next_free_vgpr 35
		.amdhsa_next_free_sgpr 14
		.amdhsa_named_barrier_count 0
		.amdhsa_reserve_vcc 0
		.amdhsa_float_round_mode_32 0
		.amdhsa_float_round_mode_16_64 0
		.amdhsa_float_denorm_mode_32 3
		.amdhsa_float_denorm_mode_16_64 3
		.amdhsa_fp16_overflow 0
		.amdhsa_memory_ordered 1
		.amdhsa_forward_progress 1
		.amdhsa_inst_pref_size 19
		.amdhsa_round_robin_scheduling 0
		.amdhsa_exception_fp_ieee_invalid_op 0
		.amdhsa_exception_fp_denorm_src 0
		.amdhsa_exception_fp_ieee_div_zero 0
		.amdhsa_exception_fp_ieee_overflow 0
		.amdhsa_exception_fp_ieee_underflow 0
		.amdhsa_exception_fp_ieee_inexact 0
		.amdhsa_exception_int_div_zero 0
	.end_amdhsa_kernel
	.text
.Lfunc_end1:
	.size	_Z18kernel_128_one_512PKfS0_S0_S0_Pf, .Lfunc_end1-_Z18kernel_128_one_512PKfS0_S0_S0_Pf
                                        ; -- End function
	.set _Z18kernel_128_one_512PKfS0_S0_S0_Pf.num_vgpr, 35
	.set _Z18kernel_128_one_512PKfS0_S0_S0_Pf.num_agpr, 0
	.set _Z18kernel_128_one_512PKfS0_S0_S0_Pf.numbered_sgpr, 14
	.set _Z18kernel_128_one_512PKfS0_S0_S0_Pf.num_named_barrier, 0
	.set _Z18kernel_128_one_512PKfS0_S0_S0_Pf.private_seg_size, 0
	.set _Z18kernel_128_one_512PKfS0_S0_S0_Pf.uses_vcc, 0
	.set _Z18kernel_128_one_512PKfS0_S0_S0_Pf.uses_flat_scratch, 0
	.set _Z18kernel_128_one_512PKfS0_S0_S0_Pf.has_dyn_sized_stack, 0
	.set _Z18kernel_128_one_512PKfS0_S0_S0_Pf.has_recursion, 0
	.set _Z18kernel_128_one_512PKfS0_S0_S0_Pf.has_indirect_call, 0
	.section	.AMDGPU.csdata,"",@progbits
; Kernel info:
; codeLenInByte = 2392
; TotalNumSgprs: 14
; NumVgprs: 35
; ScratchSize: 0
; MemoryBound: 0
; FloatMode: 240
; IeeeMode: 1
; LDSByteSize: 0 bytes/workgroup (compile time only)
; SGPRBlocks: 0
; VGPRBlocks: 2
; NumSGPRsForWavesPerEU: 14
; NumVGPRsForWavesPerEU: 35
; NamedBarCnt: 0
; Occupancy: 16
; WaveLimiterHint : 0
; COMPUTE_PGM_RSRC2:SCRATCH_EN: 0
; COMPUTE_PGM_RSRC2:USER_SGPR: 2
; COMPUTE_PGM_RSRC2:TRAP_HANDLER: 0
; COMPUTE_PGM_RSRC2:TGID_X_EN: 1
; COMPUTE_PGM_RSRC2:TGID_Y_EN: 1
; COMPUTE_PGM_RSRC2:TGID_Z_EN: 0
; COMPUTE_PGM_RSRC2:TIDIG_COMP_CNT: 1
	.text
	.p2alignl 7, 3214868480
	.fill 96, 4, 3214868480
	.section	.AMDGPU.gpr_maximums,"",@progbits
	.set amdgpu.max_num_vgpr, 0
	.set amdgpu.max_num_agpr, 0
	.set amdgpu.max_num_sgpr, 0
	.text
	.type	__hip_cuid_152fd6d0db2f8b45,@object ; @__hip_cuid_152fd6d0db2f8b45
	.section	.bss,"aw",@nobits
	.globl	__hip_cuid_152fd6d0db2f8b45
__hip_cuid_152fd6d0db2f8b45:
	.byte	0                               ; 0x0
	.size	__hip_cuid_152fd6d0db2f8b45, 1

	.ident	"AMD clang version 22.0.0git (https://github.com/RadeonOpenCompute/llvm-project roc-7.2.4 26084 f58b06dce1f9c15707c5f808fd002e18c2accf7e)"
	.section	".note.GNU-stack","",@progbits
	.addrsig
	.addrsig_sym __hip_cuid_152fd6d0db2f8b45
	.amdgpu_metadata
---
amdhsa.kernels:
  - .args:
      - .actual_access:  read_only
        .address_space:  global
        .offset:         0
        .size:           8
        .value_kind:     global_buffer
      - .actual_access:  read_only
        .address_space:  global
        .offset:         8
        .size:           8
        .value_kind:     global_buffer
      - .actual_access:  read_only
        .address_space:  global
        .offset:         16
        .size:           8
        .value_kind:     global_buffer
      - .actual_access:  read_only
        .address_space:  global
        .offset:         24
        .size:           8
        .value_kind:     global_buffer
      - .actual_access:  write_only
        .address_space:  global
        .offset:         32
        .size:           8
        .value_kind:     global_buffer
    .group_segment_fixed_size: 0
    .kernarg_segment_align: 8
    .kernarg_segment_size: 40
    .language:       OpenCL C
    .language_version:
      - 2
      - 0
    .max_flat_workgroup_size: 1024
    .name:           _Z18kernel_512_one_128PKfS0_S0_S0_Pf
    .private_segment_fixed_size: 0
    .sgpr_count:     13
    .sgpr_spill_count: 0
    .symbol:         _Z18kernel_512_one_128PKfS0_S0_S0_Pf.kd
    .uniform_work_group_size: 1
    .uses_dynamic_stack: false
    .vgpr_count:     24
    .vgpr_spill_count: 0
    .wavefront_size: 32
  - .args:
      - .actual_access:  read_only
        .address_space:  global
        .offset:         0
        .size:           8
        .value_kind:     global_buffer
      - .actual_access:  read_only
        .address_space:  global
        .offset:         8
        .size:           8
        .value_kind:     global_buffer
      - .actual_access:  read_only
        .address_space:  global
        .offset:         16
        .size:           8
        .value_kind:     global_buffer
      - .actual_access:  read_only
        .address_space:  global
        .offset:         24
        .size:           8
        .value_kind:     global_buffer
      - .actual_access:  write_only
        .address_space:  global
        .offset:         32
        .size:           8
        .value_kind:     global_buffer
    .group_segment_fixed_size: 0
    .kernarg_segment_align: 8
    .kernarg_segment_size: 40
    .language:       OpenCL C
    .language_version:
      - 2
      - 0
    .max_flat_workgroup_size: 1024
    .name:           _Z18kernel_128_one_512PKfS0_S0_S0_Pf
    .private_segment_fixed_size: 0
    .sgpr_count:     14
    .sgpr_spill_count: 0
    .symbol:         _Z18kernel_128_one_512PKfS0_S0_S0_Pf.kd
    .uniform_work_group_size: 1
    .uses_dynamic_stack: false
    .vgpr_count:     35
    .vgpr_spill_count: 0
    .wavefront_size: 32
amdhsa.target:   amdgcn-amd-amdhsa--gfx1250
amdhsa.version:
  - 1
  - 2
...

	.end_amdgpu_metadata
